;; amdgpu-corpus repo=ROCm/rocFFT kind=compiled arch=gfx906 opt=O3
	.text
	.amdgcn_target "amdgcn-amd-amdhsa--gfx906"
	.amdhsa_code_object_version 6
	.protected	bluestein_single_back_len400_dim1_sp_op_CI_CI ; -- Begin function bluestein_single_back_len400_dim1_sp_op_CI_CI
	.globl	bluestein_single_back_len400_dim1_sp_op_CI_CI
	.p2align	8
	.type	bluestein_single_back_len400_dim1_sp_op_CI_CI,@function
bluestein_single_back_len400_dim1_sp_op_CI_CI: ; @bluestein_single_back_len400_dim1_sp_op_CI_CI
; %bb.0:
	v_mul_u32_u24_e32 v1, 0x667, v0
	s_load_dwordx4 s[12:15], s[4:5], 0x28
	v_lshrrev_b32_e32 v1, 16, v1
	v_mad_u64_u32 v[70:71], s[0:1], s6, 3, v[1:2]
	v_mov_b32_e32 v71, 0
	s_waitcnt lgkmcnt(0)
	v_cmp_gt_u64_e32 vcc, s[12:13], v[70:71]
	s_and_saveexec_b64 s[0:1], vcc
	s_cbranch_execz .LBB0_15
; %bb.1:
	s_load_dwordx4 s[0:3], s[4:5], 0x18
	s_load_dwordx2 s[12:13], s[4:5], 0x0
	v_mul_lo_u16_e32 v1, 40, v1
	v_sub_u16_e32 v84, v0, v1
	v_lshlrev_b32_e32 v38, 3, v84
	s_waitcnt lgkmcnt(0)
	s_load_dwordx4 s[8:11], s[0:1], 0x0
	global_load_dwordx2 v[77:78], v38, s[12:13]
	global_load_dwordx2 v[75:76], v38, s[12:13] offset:800
	v_mov_b32_e32 v19, s13
	s_waitcnt lgkmcnt(0)
	v_mad_u64_u32 v[0:1], s[0:1], s10, v70, 0
	v_mad_u64_u32 v[2:3], s[0:1], s8, v84, 0
	v_mad_u64_u32 v[4:5], s[0:1], s11, v70, v[1:2]
	v_mad_u64_u32 v[5:6], s[0:1], s9, v84, v[3:4]
	v_mov_b32_e32 v1, v4
	v_lshlrev_b64 v[0:1], 3, v[0:1]
	v_mov_b32_e32 v6, s15
	v_mov_b32_e32 v3, v5
	v_add_co_u32_e32 v4, vcc, s14, v0
	v_addc_co_u32_e32 v5, vcc, v6, v1, vcc
	v_lshlrev_b64 v[0:1], 3, v[2:3]
	s_mul_i32 s0, s9, 0x64
	s_mul_hi_u32 s1, s8, 0x64
	v_add_co_u32_e32 v0, vcc, v4, v0
	s_add_i32 s1, s1, s0
	s_mul_i32 s0, s8, 0x64
	v_addc_co_u32_e32 v1, vcc, v5, v1, vcc
	s_lshl_b64 s[14:15], s[0:1], 3
	global_load_dwordx2 v[2:3], v[0:1], off
	v_mov_b32_e32 v16, s15
	v_add_co_u32_e32 v0, vcc, s14, v0
	v_addc_co_u32_e32 v1, vcc, v1, v16, vcc
	v_add_co_u32_e32 v4, vcc, s14, v0
	s_mul_hi_u32 s1, s8, 0xfffffefc
	v_addc_co_u32_e32 v5, vcc, v1, v16, vcc
	s_mul_i32 s0, s9, 0xfffffefc
	s_sub_i32 s1, s1, s8
	global_load_dwordx2 v[6:7], v[0:1], off
	global_load_dwordx2 v[8:9], v[4:5], off
	global_load_dwordx2 v[71:72], v38, s[12:13] offset:1600
	v_add_co_u32_e32 v0, vcc, s14, v4
	s_add_i32 s1, s1, s0
	s_mul_i32 s0, s8, 0xfffffefc
	v_addc_co_u32_e32 v1, vcc, v5, v16, vcc
	s_lshl_b64 s[16:17], s[0:1], 3
	global_load_dwordx2 v[68:69], v38, s[12:13] offset:2400
	v_mov_b32_e32 v5, s17
	v_add_co_u32_e32 v4, vcc, s16, v0
	v_addc_co_u32_e32 v5, vcc, v1, v5, vcc
	global_load_dwordx2 v[10:11], v[0:1], off
	global_load_dwordx2 v[12:13], v[4:5], off
	global_load_dwordx2 v[64:65], v38, s[12:13] offset:1120
	global_load_dwordx2 v[73:74], v38, s[12:13] offset:320
	v_add_co_u32_e32 v0, vcc, s14, v4
	v_addc_co_u32_e32 v1, vcc, v5, v16, vcc
	global_load_dwordx2 v[4:5], v[0:1], off
	v_add_co_u32_e32 v0, vcc, s14, v0
	v_addc_co_u32_e32 v1, vcc, v1, v16, vcc
	global_load_dwordx2 v[14:15], v[0:1], off
	global_load_dwordx2 v[62:63], v38, s[12:13] offset:2720
	global_load_dwordx2 v[66:67], v38, s[12:13] offset:1920
	v_add_co_u32_e32 v0, vcc, s14, v0
	v_addc_co_u32_e32 v1, vcc, v1, v16, vcc
	global_load_dwordx2 v[16:17], v[0:1], off
	s_mov_b32 s0, 0xaaaaaaab
	v_mul_hi_u32 v18, v70, s0
	v_add_co_u32_e32 v60, vcc, s12, v38
	v_addc_co_u32_e32 v61, vcc, 0, v19, vcc
	v_lshrrev_b32_e32 v18, 1, v18
	v_lshl_add_u32 v18, v18, 1, v18
	v_sub_u32_e32 v18, v70, v18
	v_mul_u32_u24_e32 v18, 0x190, v18
	v_lshlrev_b32_e32 v42, 3, v18
	v_add_u32_e32 v83, v38, v42
	s_load_dwordx2 s[6:7], s[4:5], 0x38
	s_load_dwordx4 s[8:11], s[2:3], 0x0
	v_cmp_gt_u16_e64 s[0:1], 20, v84
	s_waitcnt vmcnt(13)
	v_mul_f32_e32 v18, v3, v78
	v_mul_f32_e32 v19, v2, v78
	v_fmac_f32_e32 v18, v2, v77
	v_fma_f32 v19, v3, v77, -v19
	s_waitcnt vmcnt(12)
	v_mul_f32_e32 v2, v7, v76
	v_mul_f32_e32 v3, v6, v76
	v_fmac_f32_e32 v2, v6, v75
	v_fma_f32 v3, v7, v75, -v3
	ds_write_b64 v83, v[2:3] offset:800
	s_waitcnt vmcnt(10)
	v_mul_f32_e32 v2, v9, v72
	v_mul_f32_e32 v3, v8, v72
	v_fmac_f32_e32 v2, v8, v71
	v_fma_f32 v3, v9, v71, -v3
	ds_write_b64 v83, v[2:3] offset:1600
	;; [unrolled: 6-line block ×3, first 2 shown]
	s_waitcnt vmcnt(5)
	v_mul_f32_e32 v2, v13, v74
	v_mul_f32_e32 v3, v12, v74
	v_fmac_f32_e32 v2, v12, v73
	v_fma_f32 v3, v13, v73, -v3
	ds_write2_b64 v83, v[18:19], v[2:3] offset1:40
	s_waitcnt vmcnt(4)
	v_mul_f32_e32 v2, v5, v65
	v_mul_f32_e32 v3, v4, v65
	v_fmac_f32_e32 v2, v4, v64
	v_fma_f32 v3, v5, v64, -v3
	ds_write_b64 v83, v[2:3] offset:1120
	s_waitcnt vmcnt(1)
	v_mul_f32_e32 v2, v15, v67
	v_mul_f32_e32 v3, v14, v67
	v_fmac_f32_e32 v2, v14, v66
	v_fma_f32 v3, v15, v66, -v3
	ds_write_b64 v83, v[2:3] offset:1920
	;; [unrolled: 6-line block ×3, first 2 shown]
	s_and_saveexec_b64 s[2:3], s[0:1]
	s_cbranch_execz .LBB0_3
; %bb.2:
	v_mov_b32_e32 v2, s17
	v_add_co_u32_e32 v0, vcc, s16, v0
	v_addc_co_u32_e32 v1, vcc, v1, v2, vcc
	global_load_dwordx2 v[2:3], v[0:1], off
	v_mov_b32_e32 v14, s15
	v_add_co_u32_e32 v0, vcc, s14, v0
	v_addc_co_u32_e32 v1, vcc, v1, v14, vcc
	global_load_dwordx2 v[4:5], v[0:1], off
	global_load_dwordx2 v[6:7], v[60:61], off offset:640
	global_load_dwordx2 v[8:9], v[60:61], off offset:1440
	v_add_co_u32_e32 v0, vcc, s14, v0
	v_addc_co_u32_e32 v1, vcc, v1, v14, vcc
	global_load_dwordx2 v[10:11], v[0:1], off
	global_load_dwordx2 v[12:13], v[60:61], off offset:2240
	v_add_co_u32_e32 v0, vcc, s14, v0
	v_addc_co_u32_e32 v1, vcc, v1, v14, vcc
	global_load_dwordx2 v[14:15], v[60:61], off offset:3040
	global_load_dwordx2 v[16:17], v[0:1], off
	s_waitcnt vmcnt(5)
	v_mul_f32_e32 v0, v3, v7
	v_mul_f32_e32 v1, v2, v7
	v_fmac_f32_e32 v0, v2, v6
	v_fma_f32 v1, v3, v6, -v1
	s_waitcnt vmcnt(4)
	v_mul_f32_e32 v2, v5, v9
	v_mul_f32_e32 v3, v4, v9
	v_fmac_f32_e32 v2, v4, v8
	v_fma_f32 v3, v5, v8, -v3
	s_waitcnt vmcnt(2)
	v_mul_f32_e32 v4, v11, v13
	v_mul_f32_e32 v5, v10, v13
	ds_write2_b64 v83, v[0:1], v[2:3] offset0:80 offset1:180
	s_waitcnt vmcnt(0)
	v_mul_f32_e32 v0, v17, v15
	v_mul_f32_e32 v1, v16, v15
	v_fmac_f32_e32 v4, v10, v12
	v_fma_f32 v5, v11, v12, -v5
	v_fmac_f32_e32 v0, v16, v14
	v_fma_f32 v1, v17, v14, -v1
	v_add_u32_e32 v2, 0x800, v83
	ds_write2_b64 v2, v[4:5], v[0:1] offset0:24 offset1:124
.LBB0_3:
	s_or_b64 exec, exec, s[2:3]
	s_waitcnt lgkmcnt(0)
	s_barrier
	ds_read2_b64 v[8:11], v83 offset1:40
	ds_read2_b64 v[4:7], v83 offset0:100 offset1:140
	ds_read2_b64 v[16:19], v83 offset0:200 offset1:240
	v_add_u32_e32 v12, 0x800, v83
	s_load_dwordx2 s[2:3], s[4:5], 0x8
	ds_read2_b64 v[20:23], v12 offset0:44 offset1:84
                                        ; implicit-def: $vgpr14
                                        ; implicit-def: $vgpr2
	s_and_saveexec_b64 s[4:5], s[0:1]
	s_cbranch_execz .LBB0_5
; %bb.4:
	ds_read2_b64 v[0:3], v83 offset0:80 offset1:180
	ds_read2_b64 v[12:15], v12 offset0:24 offset1:124
.LBB0_5:
	s_or_b64 exec, exec, s[4:5]
	s_waitcnt lgkmcnt(0)
	v_sub_f32_e32 v16, v8, v16
	v_sub_f32_e32 v20, v4, v20
	;; [unrolled: 1-line block ×3, first 2 shown]
	v_fma_f32 v8, v8, 2.0, -v16
	v_sub_f32_e32 v21, v5, v21
	v_fma_f32 v4, v4, 2.0, -v20
	v_fma_f32 v9, v9, 2.0, -v17
	;; [unrolled: 1-line block ×3, first 2 shown]
	v_sub_f32_e32 v24, v8, v4
	v_sub_f32_e32 v4, v10, v18
	;; [unrolled: 1-line block ×3, first 2 shown]
	v_fma_f32 v28, v8, 2.0, -v24
	v_sub_f32_e32 v5, v11, v19
	v_fma_f32 v8, v10, 2.0, -v4
	v_sub_f32_e32 v10, v6, v22
	v_fma_f32 v29, v9, 2.0, -v25
	v_fma_f32 v9, v11, 2.0, -v5
	v_sub_f32_e32 v11, v7, v23
	v_fma_f32 v6, v6, 2.0, -v10
	v_sub_f32_e32 v26, v16, v21
	v_fma_f32 v7, v7, 2.0, -v11
	v_sub_f32_e32 v6, v8, v6
	v_add_f32_e32 v27, v17, v20
	v_fma_f32 v30, v16, 2.0, -v26
	v_sub_f32_e32 v7, v9, v7
	v_fma_f32 v16, v8, 2.0, -v6
	v_sub_f32_e32 v8, v4, v11
	v_fma_f32 v31, v17, 2.0, -v27
	v_fma_f32 v17, v9, 2.0, -v7
	v_add_f32_e32 v9, v5, v10
	v_fma_f32 v18, v4, 2.0, -v8
	v_sub_f32_e32 v4, v0, v12
	v_sub_f32_e32 v10, v2, v14
	v_fma_f32 v19, v5, 2.0, -v9
	v_sub_f32_e32 v5, v1, v13
	v_fma_f32 v0, v0, 2.0, -v4
	;; [unrolled: 2-line block ×3, first 2 shown]
	v_add_co_u32_e32 v32, vcc, 0x50, v84
	v_fma_f32 v1, v1, 2.0, -v5
	v_fma_f32 v3, v3, 2.0, -v11
	v_sub_f32_e32 v12, v0, v2
	v_lshlrev_b16_e32 v2, 2, v84
	v_sub_f32_e32 v13, v1, v3
	v_sub_f32_e32 v14, v4, v11
	v_add_f32_e32 v15, v10, v5
	v_lshl_add_u32 v86, v2, 3, v42
	v_lshl_add_u32 v39, v84, 5, v42
	;; [unrolled: 1-line block ×3, first 2 shown]
	s_barrier
	ds_write_b128 v86, v[28:31]
	ds_write_b128 v86, v[24:27] offset:16
	ds_write_b128 v39, v[16:19] offset:1280
	;; [unrolled: 1-line block ×3, first 2 shown]
	s_and_saveexec_b64 s[4:5], s[0:1]
	s_cbranch_execz .LBB0_7
; %bb.6:
	v_fma_f32 v3, v5, 2.0, -v15
	v_fma_f32 v2, v4, 2.0, -v14
	;; [unrolled: 1-line block ×4, first 2 shown]
	ds_write_b128 v85, v[0:3]
	ds_write_b128 v85, v[12:15] offset:16
.LBB0_7:
	s_or_b64 exec, exec, s[4:5]
	v_mov_b32_e32 v37, s3
	v_and_b32_e32 v49, 3, v84
	s_movk_i32 s14, 0x48
	v_mov_b32_e32 v36, s2
	v_mad_u64_u32 v[20:21], s[2:3], v49, s14, v[36:37]
	s_waitcnt lgkmcnt(0)
	s_barrier
	global_load_dwordx4 v[16:19], v[20:21], off
	global_load_dwordx4 v[8:11], v[20:21], off offset:16
	global_load_dwordx4 v[4:7], v[20:21], off offset:32
	;; [unrolled: 1-line block ×3, first 2 shown]
	global_load_dwordx2 v[79:80], v[20:21], off offset:64
	v_add_u32_e32 v44, 0x400, v83
	ds_read2_b64 v[20:23], v83 offset1:40
	ds_read2_b64 v[24:27], v83 offset0:80 offset1:120
	ds_read2_b64 v[28:31], v83 offset0:160 offset1:200
	v_add_u32_e32 v43, 0x800, v83
	ds_read2_b64 v[32:35], v44 offset0:112 offset1:152
	ds_read2_b64 v[45:48], v43 offset0:64 offset1:104
	s_mov_b32 s3, 0x3f737871
	s_mov_b32 s2, 0x3f167918
	;; [unrolled: 1-line block ×3, first 2 shown]
	v_mad_u64_u32 v[36:37], s[14:15], v84, s14, v[36:37]
	s_mov_b32 s4, 0xbf737871
	s_waitcnt vmcnt(0) lgkmcnt(0)
	s_barrier
	v_mul_f32_e32 v40, v23, v17
	v_mul_f32_e32 v41, v22, v17
	;; [unrolled: 1-line block ×12, first 2 shown]
	v_fma_f32 v40, v22, v16, -v40
	v_fmac_f32_e32 v41, v23, v16
	v_fma_f32 v22, v24, v18, -v50
	v_fma_f32 v23, v26, v8, -v52
	;; [unrolled: 1-line block ×5, first 2 shown]
	v_mul_f32_e32 v57, v30, v5
	v_mul_f32_e32 v59, v32, v7
	;; [unrolled: 1-line block ×4, first 2 shown]
	v_fmac_f32_e32 v53, v27, v8
	v_fma_f32 v27, v34, v0, -v81
	v_fmac_f32_e32 v82, v35, v0
	v_sub_f32_e32 v34, v22, v24
	v_sub_f32_e32 v35, v28, v26
	v_add_f32_e32 v45, v22, v28
	v_mul_f32_e32 v56, v31, v5
	v_mul_f32_e32 v90, v47, v80
	v_fmac_f32_e32 v55, v29, v10
	v_fmac_f32_e32 v57, v31, v4
	;; [unrolled: 1-line block ×4, first 2 shown]
	v_fma_f32 v29, v47, v79, -v89
	v_add_f32_e32 v31, v24, v26
	v_sub_f32_e32 v46, v24, v22
	v_sub_f32_e32 v47, v26, v28
	v_add_f32_e32 v34, v34, v35
	v_fma_f32 v35, -0.5, v45, v20
	v_fmac_f32_e32 v51, v25, v18
	v_fma_f32 v25, v30, v4, -v56
	v_add_f32_e32 v30, v20, v22
	v_sub_f32_e32 v33, v55, v59
	v_fma_f32 v31, -0.5, v31, v20
	v_add_f32_e32 v20, v46, v47
	v_mov_b32_e32 v47, v35
	v_sub_f32_e32 v32, v51, v88
	v_fmac_f32_e32 v35, 0x3f737871, v33
	v_fmac_f32_e32 v47, 0xbf737871, v33
	;; [unrolled: 1-line block ×5, first 2 shown]
	v_add_f32_e32 v48, v21, v51
	v_fmac_f32_e32 v35, 0x3e9e377a, v20
	v_fmac_f32_e32 v47, 0x3e9e377a, v20
	v_add_f32_e32 v20, v55, v59
	v_add_f32_e32 v45, v48, v55
	v_fma_f32 v48, -0.5, v20, v21
	v_add_f32_e32 v30, v30, v24
	v_sub_f32_e32 v20, v22, v28
	v_mov_b32_e32 v50, v48
	v_add_f32_e32 v30, v30, v26
	v_fmac_f32_e32 v50, 0xbf737871, v20
	v_sub_f32_e32 v22, v24, v26
	v_sub_f32_e32 v24, v51, v55
	;; [unrolled: 1-line block ×3, first 2 shown]
	v_fmac_f32_e32 v48, 0x3f737871, v20
	v_fmac_f32_e32 v50, 0xbf167918, v22
	v_add_f32_e32 v24, v24, v26
	v_fmac_f32_e32 v48, 0x3f167918, v22
	v_fmac_f32_e32 v50, 0x3e9e377a, v24
	;; [unrolled: 1-line block ×3, first 2 shown]
	v_add_f32_e32 v24, v51, v88
	v_fma_f32 v52, -0.5, v24, v21
	v_mov_b32_e32 v54, v52
	v_fmac_f32_e32 v54, 0x3f737871, v22
	v_fmac_f32_e32 v52, 0xbf737871, v22
	;; [unrolled: 1-line block ×4, first 2 shown]
	v_add_f32_e32 v20, v40, v23
	v_mov_b32_e32 v46, v31
	v_add_f32_e32 v20, v20, v25
	v_fmac_f32_e32 v31, 0xbf737871, v32
	v_fmac_f32_e32 v46, 0x3f737871, v32
	v_add_f32_e32 v20, v20, v27
	v_fmac_f32_e32 v31, 0xbf167918, v33
	v_fmac_f32_e32 v46, 0x3f167918, v33
	v_add_f32_e32 v32, v20, v29
	v_add_f32_e32 v20, v25, v27
	;; [unrolled: 1-line block ×3, first 2 shown]
	v_fmac_f32_e32 v31, 0x3e9e377a, v34
	v_fmac_f32_e32 v46, 0x3e9e377a, v34
	v_sub_f32_e32 v21, v55, v51
	v_sub_f32_e32 v24, v59, v88
	v_fma_f32 v34, -0.5, v20, v40
	v_add_f32_e32 v33, v45, v88
	v_add_f32_e32 v21, v21, v24
	v_sub_f32_e32 v20, v53, v90
	v_mov_b32_e32 v45, v34
	v_fmac_f32_e32 v54, 0x3e9e377a, v21
	v_fmac_f32_e32 v52, 0x3e9e377a, v21
	;; [unrolled: 1-line block ×3, first 2 shown]
	v_sub_f32_e32 v21, v57, v82
	v_sub_f32_e32 v22, v23, v25
	;; [unrolled: 1-line block ×3, first 2 shown]
	v_fmac_f32_e32 v34, 0xbf737871, v20
	v_fmac_f32_e32 v45, 0x3f167918, v21
	v_add_f32_e32 v22, v22, v24
	v_fmac_f32_e32 v34, 0xbf167918, v21
	v_fmac_f32_e32 v45, 0x3e9e377a, v22
	;; [unrolled: 1-line block ×3, first 2 shown]
	v_add_f32_e32 v22, v23, v29
	v_fmac_f32_e32 v40, -0.5, v22
	v_mov_b32_e32 v51, v40
	v_fmac_f32_e32 v51, 0xbf737871, v21
	v_fmac_f32_e32 v40, 0x3f737871, v21
	;; [unrolled: 1-line block ×4, first 2 shown]
	v_add_f32_e32 v20, v41, v53
	v_add_f32_e32 v20, v20, v57
	;; [unrolled: 1-line block ×5, first 2 shown]
	v_sub_f32_e32 v22, v25, v23
	v_sub_f32_e32 v24, v27, v29
	v_fma_f32 v56, -0.5, v20, v41
	v_add_f32_e32 v22, v22, v24
	v_sub_f32_e32 v20, v23, v29
	v_mov_b32_e32 v23, v56
	v_fmac_f32_e32 v51, 0x3e9e377a, v22
	v_fmac_f32_e32 v40, 0x3e9e377a, v22
	;; [unrolled: 1-line block ×3, first 2 shown]
	v_sub_f32_e32 v21, v25, v27
	v_sub_f32_e32 v22, v53, v57
	;; [unrolled: 1-line block ×3, first 2 shown]
	v_fmac_f32_e32 v56, 0x3f737871, v20
	v_fmac_f32_e32 v23, 0xbf167918, v21
	v_add_f32_e32 v22, v22, v24
	v_fmac_f32_e32 v56, 0x3f167918, v21
	v_fmac_f32_e32 v23, 0x3e9e377a, v22
	;; [unrolled: 1-line block ×3, first 2 shown]
	v_add_f32_e32 v22, v53, v90
	v_fmac_f32_e32 v41, -0.5, v22
	v_mov_b32_e32 v25, v41
	v_fmac_f32_e32 v25, 0x3f737871, v21
	v_sub_f32_e32 v22, v57, v53
	v_sub_f32_e32 v24, v82, v90
	v_fmac_f32_e32 v25, 0xbf167918, v20
	v_add_f32_e32 v22, v22, v24
	v_fmac_f32_e32 v41, 0xbf737871, v21
	v_fmac_f32_e32 v25, 0x3e9e377a, v22
	v_fmac_f32_e32 v41, 0x3f167918, v20
	v_fmac_f32_e32 v41, 0x3e9e377a, v22
	v_mul_f32_e32 v57, 0x3f737871, v25
	v_mul_f32_e32 v21, 0x3e9e377a, v40
	v_fmac_f32_e32 v57, 0x3e9e377a, v51
	v_fma_f32 v58, v41, s3, -v21
	v_mul_f32_e32 v21, 0x3f4f1bbd, v34
	v_mul_f32_e32 v29, 0x3f4f1bbd, v56
	v_add_f32_e32 v24, v47, v57
	v_fma_f32 v59, v56, s2, -v21
	v_fma_f32 v56, v34, s5, -v29
	v_sub_f32_e32 v34, v47, v57
	v_lshrrev_b32_e32 v47, 2, v84
	v_mul_f32_e32 v53, 0x3f167918, v23
	v_mul_f32_e32 v81, 0xbf167918, v45
	;; [unrolled: 1-line block ×4, first 2 shown]
	v_mul_u32_u24_e32 v47, 40, v47
	v_add_f32_e32 v30, v30, v28
	v_fmac_f32_e32 v53, 0x3f4f1bbd, v45
	v_fmac_f32_e32 v81, 0x3f4f1bbd, v23
	;; [unrolled: 1-line block ×3, first 2 shown]
	v_fma_f32 v41, v40, s4, -v27
	v_or_b32_e32 v47, v47, v49
	v_add_f32_e32 v20, v30, v32
	v_add_f32_e32 v22, v46, v53
	;; [unrolled: 1-line block ×9, first 2 shown]
	v_sub_f32_e32 v30, v30, v32
	v_sub_f32_e32 v32, v46, v53
	;; [unrolled: 1-line block ×7, first 2 shown]
	v_lshl_add_u32 v87, v47, 3, v42
	v_sub_f32_e32 v41, v52, v41
	v_sub_f32_e32 v46, v48, v56
	ds_write2_b64 v87, v[20:21], v[22:23] offset1:4
	ds_write2_b64 v87, v[24:25], v[26:27] offset0:8 offset1:12
	ds_write2_b64 v87, v[28:29], v[30:31] offset0:16 offset1:20
	;; [unrolled: 1-line block ×4, first 2 shown]
	s_waitcnt lgkmcnt(0)
	s_barrier
	global_load_dwordx4 v[32:35], v[36:37], off offset:288
	global_load_dwordx4 v[28:31], v[36:37], off offset:304
	;; [unrolled: 1-line block ×4, first 2 shown]
	global_load_dwordx2 v[81:82], v[36:37], off offset:352
	ds_read2_b64 v[45:48], v83 offset1:40
	ds_read2_b64 v[49:52], v83 offset0:80 offset1:120
	ds_read2_b64 v[53:56], v83 offset0:160 offset1:200
	ds_read2_b64 v[88:91], v44 offset0:112 offset1:152
	ds_read2_b64 v[92:95], v43 offset0:64 offset1:104
	s_waitcnt vmcnt(4) lgkmcnt(4)
	v_mul_f32_e32 v36, v48, v33
	s_waitcnt lgkmcnt(3)
	v_mul_f32_e32 v40, v50, v35
	v_fma_f32 v36, v47, v32, -v36
	v_mul_f32_e32 v37, v47, v33
	v_fma_f32 v40, v49, v34, -v40
	v_mul_f32_e32 v41, v49, v35
	s_waitcnt vmcnt(3)
	v_mul_f32_e32 v47, v52, v29
	s_waitcnt lgkmcnt(2)
	v_mul_f32_e32 v49, v54, v31
	v_fmac_f32_e32 v37, v48, v32
	v_fmac_f32_e32 v41, v50, v34
	v_fma_f32 v47, v51, v28, -v47
	v_mul_f32_e32 v48, v51, v29
	v_fma_f32 v49, v53, v30, -v49
	v_mul_f32_e32 v50, v53, v31
	s_waitcnt vmcnt(2)
	v_mul_f32_e32 v51, v56, v25
	s_waitcnt lgkmcnt(1)
	v_mul_f32_e32 v53, v89, v27
	s_waitcnt vmcnt(1) lgkmcnt(0)
	v_mul_f32_e32 v57, v93, v23
	v_fmac_f32_e32 v48, v52, v28
	v_fmac_f32_e32 v50, v54, v30
	v_fma_f32 v51, v55, v24, -v51
	v_mul_f32_e32 v52, v55, v25
	v_fma_f32 v53, v88, v26, -v53
	v_mul_f32_e32 v54, v88, v27
	v_mul_f32_e32 v55, v91, v21
	v_fma_f32 v57, v92, v22, -v57
	v_fmac_f32_e32 v52, v56, v24
	v_fmac_f32_e32 v54, v89, v26
	v_fma_f32 v55, v90, v20, -v55
	v_mul_f32_e32 v56, v90, v21
	v_mul_f32_e32 v58, v92, v23
	v_add_f32_e32 v90, v49, v53
	v_add_f32_e32 v92, v40, v57
	v_fmac_f32_e32 v58, v93, v22
	v_add_f32_e32 v89, v45, v40
	v_fma_f32 v90, -0.5, v90, v45
	v_fma_f32 v92, -0.5, v92, v45
	v_add_f32_e32 v45, v50, v54
	s_waitcnt vmcnt(0)
	v_mul_f32_e32 v59, v95, v82
	v_mul_f32_e32 v88, v94, v82
	v_fma_f32 v93, -0.5, v45, v46
	v_add_f32_e32 v45, v41, v58
	v_fmac_f32_e32 v56, v91, v20
	v_fma_f32 v59, v94, v81, -v59
	v_fmac_f32_e32 v88, v95, v81
	v_sub_f32_e32 v91, v41, v58
	v_fma_f32 v94, -0.5, v45, v46
	v_add_f32_e32 v45, v46, v41
	v_mov_b32_e32 v95, v90
	v_sub_f32_e32 v46, v40, v49
	v_sub_f32_e32 v96, v57, v53
	v_fmac_f32_e32 v95, 0x3f737871, v91
	v_add_f32_e32 v46, v46, v96
	v_sub_f32_e32 v96, v50, v54
	v_fmac_f32_e32 v90, 0xbf737871, v91
	v_fmac_f32_e32 v95, 0x3f167918, v96
	;; [unrolled: 1-line block ×5, first 2 shown]
	v_sub_f32_e32 v46, v49, v40
	v_sub_f32_e32 v97, v53, v57
	v_add_f32_e32 v46, v46, v97
	v_mov_b32_e32 v97, v92
	v_fmac_f32_e32 v97, 0xbf737871, v96
	v_fmac_f32_e32 v92, 0x3f737871, v96
	v_add_f32_e32 v45, v45, v50
	v_fmac_f32_e32 v97, 0x3f167918, v91
	v_fmac_f32_e32 v92, 0xbf167918, v91
	v_add_f32_e32 v45, v45, v54
	v_sub_f32_e32 v40, v40, v57
	v_mov_b32_e32 v96, v93
	v_add_f32_e32 v89, v89, v49
	v_fmac_f32_e32 v97, 0x3e9e377a, v46
	v_fmac_f32_e32 v92, 0x3e9e377a, v46
	v_add_f32_e32 v91, v45, v58
	v_fmac_f32_e32 v96, 0xbf737871, v40
	v_sub_f32_e32 v45, v49, v53
	v_sub_f32_e32 v46, v41, v50
	;; [unrolled: 1-line block ×3, first 2 shown]
	v_fmac_f32_e32 v93, 0x3f737871, v40
	v_fmac_f32_e32 v96, 0xbf167918, v45
	v_add_f32_e32 v46, v46, v49
	v_fmac_f32_e32 v93, 0x3f167918, v45
	v_mov_b32_e32 v98, v94
	v_fmac_f32_e32 v96, 0x3e9e377a, v46
	v_fmac_f32_e32 v93, 0x3e9e377a, v46
	;; [unrolled: 1-line block ×3, first 2 shown]
	v_sub_f32_e32 v41, v50, v41
	v_sub_f32_e32 v46, v54, v58
	v_fmac_f32_e32 v94, 0xbf737871, v45
	v_fmac_f32_e32 v98, 0xbf167918, v40
	v_add_f32_e32 v41, v41, v46
	v_fmac_f32_e32 v94, 0x3f167918, v40
	v_fmac_f32_e32 v98, 0x3e9e377a, v41
	;; [unrolled: 1-line block ×3, first 2 shown]
	v_add_f32_e32 v41, v51, v55
	v_fma_f32 v41, -0.5, v41, v36
	v_sub_f32_e32 v45, v48, v88
	v_mov_b32_e32 v46, v41
	v_add_f32_e32 v89, v89, v53
	v_fmac_f32_e32 v46, 0x3f737871, v45
	v_sub_f32_e32 v49, v52, v56
	v_sub_f32_e32 v50, v47, v51
	;; [unrolled: 1-line block ×3, first 2 shown]
	v_fmac_f32_e32 v41, 0xbf737871, v45
	v_fmac_f32_e32 v46, 0x3f167918, v49
	v_add_f32_e32 v50, v50, v53
	v_fmac_f32_e32 v41, 0xbf167918, v49
	v_fmac_f32_e32 v46, 0x3e9e377a, v50
	v_fmac_f32_e32 v41, 0x3e9e377a, v50
	v_add_f32_e32 v50, v47, v59
	v_add_f32_e32 v40, v36, v47
	v_fmac_f32_e32 v36, -0.5, v50
	v_mov_b32_e32 v50, v36
	v_fmac_f32_e32 v50, 0xbf737871, v49
	v_fmac_f32_e32 v36, 0x3f737871, v49
	;; [unrolled: 1-line block ×4, first 2 shown]
	v_add_f32_e32 v45, v37, v48
	v_add_f32_e32 v45, v45, v52
	v_sub_f32_e32 v53, v51, v47
	v_sub_f32_e32 v54, v55, v59
	v_add_f32_e32 v45, v45, v56
	v_add_f32_e32 v53, v53, v54
	;; [unrolled: 1-line block ×4, first 2 shown]
	v_fmac_f32_e32 v50, 0x3e9e377a, v53
	v_fmac_f32_e32 v36, 0x3e9e377a, v53
	v_fma_f32 v53, -0.5, v45, v37
	v_add_f32_e32 v89, v89, v57
	v_sub_f32_e32 v45, v47, v59
	v_mov_b32_e32 v57, v53
	v_add_f32_e32 v40, v40, v51
	v_fmac_f32_e32 v57, 0xbf737871, v45
	v_sub_f32_e32 v47, v51, v55
	v_sub_f32_e32 v49, v48, v52
	;; [unrolled: 1-line block ×3, first 2 shown]
	v_fmac_f32_e32 v53, 0x3f737871, v45
	v_fmac_f32_e32 v57, 0xbf167918, v47
	v_add_f32_e32 v49, v49, v51
	v_fmac_f32_e32 v53, 0x3f167918, v47
	v_fmac_f32_e32 v57, 0x3e9e377a, v49
	;; [unrolled: 1-line block ×3, first 2 shown]
	v_add_f32_e32 v49, v48, v88
	v_fmac_f32_e32 v37, -0.5, v49
	v_mov_b32_e32 v51, v37
	v_fmac_f32_e32 v51, 0x3f737871, v47
	v_sub_f32_e32 v48, v52, v48
	v_sub_f32_e32 v49, v56, v88
	v_fmac_f32_e32 v37, 0xbf737871, v47
	v_fmac_f32_e32 v51, 0xbf167918, v45
	v_add_f32_e32 v48, v48, v49
	v_fmac_f32_e32 v37, 0x3f167918, v45
	v_mul_f32_e32 v58, 0x3f167918, v57
	v_add_f32_e32 v40, v40, v55
	v_fmac_f32_e32 v51, 0x3e9e377a, v48
	v_fmac_f32_e32 v37, 0x3e9e377a, v48
	;; [unrolled: 1-line block ×3, first 2 shown]
	v_mul_f32_e32 v99, 0xbf167918, v46
	v_mul_f32_e32 v46, 0x3e9e377a, v36
	v_add_f32_e32 v40, v40, v59
	v_mul_f32_e32 v59, 0x3f737871, v51
	v_fma_f32 v100, v37, s3, -v46
	v_mul_f32_e32 v37, 0x3e9e377a, v37
	v_fmac_f32_e32 v59, 0x3e9e377a, v50
	v_fmac_f32_e32 v99, 0x3f4f1bbd, v57
	v_mul_f32_e32 v101, 0xbf737871, v50
	v_mul_f32_e32 v46, 0x3f4f1bbd, v41
	v_fma_f32 v37, v36, s4, -v37
	v_mul_f32_e32 v36, 0x3f4f1bbd, v53
	v_add_f32_e32 v45, v89, v40
	v_add_f32_e32 v47, v95, v58
	;; [unrolled: 1-line block ×3, first 2 shown]
	v_fmac_f32_e32 v101, 0x3e9e377a, v51
	v_fma_f32 v102, v53, s2, -v46
	v_fma_f32 v41, v41, s5, -v36
	v_add_f32_e32 v46, v91, v54
	v_add_f32_e32 v48, v96, v99
	;; [unrolled: 1-line block ×3, first 2 shown]
	v_sub_f32_e32 v53, v89, v40
	v_sub_f32_e32 v54, v91, v54
	v_add_f32_e32 v55, v90, v102
	v_add_f32_e32 v50, v98, v101
	;; [unrolled: 1-line block ×4, first 2 shown]
	v_sub_f32_e32 v57, v95, v58
	v_sub_f32_e32 v88, v97, v59
	;; [unrolled: 1-line block ×8, first 2 shown]
	ds_write2_b64 v83, v[45:46], v[47:48] offset1:40
	ds_write2_b64 v83, v[49:50], v[51:52] offset0:80 offset1:120
	ds_write2_b64 v83, v[55:56], v[53:54] offset0:160 offset1:200
	;; [unrolled: 1-line block ×4, first 2 shown]
	s_waitcnt lgkmcnt(0)
	s_barrier
	global_load_dwordx2 v[48:49], v[60:61], off offset:3200
	s_add_u32 s2, s12, 0xc80
	s_addc_u32 s3, s13, 0
	global_load_dwordx2 v[52:53], v38, s[2:3] offset:320
	global_load_dwordx2 v[54:55], v38, s[2:3] offset:800
	;; [unrolled: 1-line block ×7, first 2 shown]
	ds_read2_b64 v[44:47], v83 offset1:40
	s_waitcnt vmcnt(7) lgkmcnt(0)
	v_mul_f32_e32 v50, v45, v49
	v_mul_f32_e32 v95, v44, v49
	v_fma_f32 v94, v44, v48, -v50
	v_fmac_f32_e32 v95, v45, v48
	ds_read2_b64 v[48:51], v83 offset0:100 offset1:140
	s_waitcnt vmcnt(6)
	v_mul_f32_e32 v44, v47, v53
	v_mul_f32_e32 v45, v46, v53
	v_fma_f32 v44, v46, v52, -v44
	v_fmac_f32_e32 v45, v47, v52
	s_waitcnt vmcnt(5) lgkmcnt(0)
	v_mul_f32_e32 v52, v49, v55
	ds_write2_b64 v83, v[94:95], v[44:45] offset1:40
	ds_read2_b64 v[44:47], v83 offset0:200 offset1:240
	v_fma_f32 v52, v48, v54, -v52
	v_mul_f32_e32 v53, v48, v55
	s_waitcnt vmcnt(4)
	v_mul_f32_e32 v48, v51, v57
	v_mul_f32_e32 v55, v50, v57
	v_fmac_f32_e32 v53, v49, v54
	v_fma_f32 v54, v50, v56, -v48
	v_fmac_f32_e32 v55, v51, v56
	ds_read2_b64 v[48:51], v43 offset0:44 offset1:84
	s_waitcnt vmcnt(3) lgkmcnt(1)
	v_mul_f32_e32 v56, v45, v59
	v_mul_f32_e32 v57, v44, v59
	v_fma_f32 v56, v44, v58, -v56
	v_fmac_f32_e32 v57, v45, v58
	s_waitcnt vmcnt(2) lgkmcnt(0)
	v_mul_f32_e32 v44, v49, v89
	v_mul_f32_e32 v45, v48, v89
	v_fma_f32 v44, v48, v88, -v44
	v_fmac_f32_e32 v45, v49, v88
	s_waitcnt vmcnt(0)
	v_mul_f32_e32 v48, v47, v93
	v_mul_f32_e32 v49, v46, v93
	v_fma_f32 v48, v46, v92, -v48
	v_fmac_f32_e32 v49, v47, v92
	v_mul_f32_e32 v46, v51, v91
	v_mul_f32_e32 v47, v50, v91
	v_fma_f32 v46, v50, v90, -v46
	v_fmac_f32_e32 v47, v51, v90
	ds_write2_b64 v83, v[52:53], v[54:55] offset0:100 offset1:140
	ds_write2_b64 v83, v[56:57], v[48:49] offset0:200 offset1:240
	;; [unrolled: 1-line block ×3, first 2 shown]
	s_and_saveexec_b64 s[4:5], s[0:1]
	s_cbranch_execz .LBB0_9
; %bb.8:
	v_mov_b32_e32 v45, s3
	v_add_co_u32_e32 v44, vcc, s2, v38
	v_addc_co_u32_e32 v45, vcc, 0, v45, vcc
	global_load_dwordx2 v[52:53], v[44:45], off offset:640
	global_load_dwordx2 v[54:55], v[44:45], off offset:1440
	;; [unrolled: 1-line block ×4, first 2 shown]
	ds_read2_b64 v[44:47], v83 offset0:80 offset1:180
	ds_read2_b64 v[48:51], v43 offset0:24 offset1:124
	s_waitcnt vmcnt(3) lgkmcnt(1)
	v_mul_f32_e32 v38, v45, v53
	v_mul_f32_e32 v89, v44, v53
	s_waitcnt vmcnt(2)
	v_mul_f32_e32 v90, v47, v55
	v_mul_f32_e32 v53, v46, v55
	s_waitcnt vmcnt(1) lgkmcnt(0)
	v_mul_f32_e32 v91, v49, v57
	v_mul_f32_e32 v55, v48, v57
	s_waitcnt vmcnt(0)
	v_mul_f32_e32 v92, v51, v59
	v_mul_f32_e32 v57, v50, v59
	v_fma_f32 v88, v44, v52, -v38
	v_fmac_f32_e32 v89, v45, v52
	v_fma_f32 v52, v46, v54, -v90
	v_fmac_f32_e32 v53, v47, v54
	;; [unrolled: 2-line block ×4, first 2 shown]
	ds_write2_b64 v83, v[88:89], v[52:53] offset0:80 offset1:180
	ds_write2_b64 v43, v[54:55], v[56:57] offset0:24 offset1:124
.LBB0_9:
	s_or_b64 exec, exec, s[4:5]
	s_waitcnt lgkmcnt(0)
	s_barrier
	ds_read2_b64 v[48:51], v83 offset1:40
	ds_read2_b64 v[44:47], v83 offset0:100 offset1:140
	ds_read2_b64 v[56:59], v83 offset0:200 offset1:240
	;; [unrolled: 1-line block ×3, first 2 shown]
	v_add_u32_e32 v88, 0x500, v39
	s_and_saveexec_b64 s[2:3], s[0:1]
	s_cbranch_execz .LBB0_11
; %bb.10:
	v_add_u32_e32 v12, 0x200, v83
	ds_read2_b64 v[36:39], v12 offset0:16 offset1:216
	v_lshl_add_u32 v12, v84, 3, v42
	v_add_u32_e32 v12, 0x400, v12
	ds_read2_b64 v[40:43], v12 offset0:52 offset1:252
	s_waitcnt lgkmcnt(1)
	v_mov_b32_e32 v12, v38
	v_mov_b32_e32 v13, v39
	s_waitcnt lgkmcnt(0)
	v_mov_b32_e32 v14, v42
	v_mov_b32_e32 v15, v43
.LBB0_11:
	s_or_b64 exec, exec, s[2:3]
	s_waitcnt lgkmcnt(1)
	v_sub_f32_e32 v38, v48, v56
	v_sub_f32_e32 v39, v49, v57
	s_waitcnt lgkmcnt(0)
	v_sub_f32_e32 v52, v44, v52
	v_sub_f32_e32 v53, v45, v53
	v_fma_f32 v48, v48, 2.0, -v38
	v_fma_f32 v49, v49, 2.0, -v39
	;; [unrolled: 1-line block ×4, first 2 shown]
	v_add_f32_e32 v44, v38, v53
	v_sub_f32_e32 v45, v39, v52
	v_sub_f32_e32 v42, v48, v42
	;; [unrolled: 1-line block ×3, first 2 shown]
	v_fma_f32 v91, v38, 2.0, -v44
	v_fma_f32 v92, v39, 2.0, -v45
	v_sub_f32_e32 v38, v50, v58
	v_sub_f32_e32 v39, v51, v59
	;; [unrolled: 1-line block ×4, first 2 shown]
	v_fma_f32 v89, v48, 2.0, -v42
	v_fma_f32 v90, v49, 2.0, -v43
	;; [unrolled: 1-line block ×6, first 2 shown]
	v_sub_f32_e32 v46, v48, v46
	v_sub_f32_e32 v47, v49, v47
	v_fma_f32 v50, v48, 2.0, -v46
	v_fma_f32 v51, v49, 2.0, -v47
	v_add_f32_e32 v48, v38, v53
	v_sub_f32_e32 v49, v39, v52
	v_fma_f32 v52, v38, 2.0, -v48
	v_fma_f32 v53, v39, 2.0, -v49
	s_barrier
	ds_write_b128 v86, v[89:92]
	ds_write_b128 v86, v[42:45] offset:16
	ds_write_b128 v88, v[50:53]
	ds_write_b128 v88, v[46:49] offset:16
	s_and_saveexec_b64 s[2:3], s[0:1]
	s_cbranch_execz .LBB0_13
; %bb.12:
	v_sub_f32_e32 v13, v37, v13
	v_sub_f32_e32 v14, v40, v14
	;; [unrolled: 1-line block ×5, first 2 shown]
	v_fma_f32 v43, v13, 2.0, -v39
	v_add_f32_e32 v38, v15, v12
	v_fma_f32 v13, v37, 2.0, -v13
	v_fma_f32 v15, v41, 2.0, -v15
	v_sub_f32_e32 v37, v13, v15
	v_fma_f32 v42, v12, 2.0, -v38
	v_fma_f32 v41, v13, 2.0, -v37
	;; [unrolled: 1-line block ×4, first 2 shown]
	v_sub_f32_e32 v36, v12, v13
	v_fma_f32 v40, v12, 2.0, -v36
	ds_write_b128 v85, v[40:43]
	ds_write_b128 v85, v[36:39] offset:16
.LBB0_13:
	s_or_b64 exec, exec, s[2:3]
	s_waitcnt lgkmcnt(0)
	s_barrier
	ds_read2_b64 v[36:39], v83 offset1:40
	ds_read2_b64 v[40:43], v83 offset0:80 offset1:120
	ds_read2_b64 v[44:47], v83 offset0:160 offset1:200
	v_add_u32_e32 v15, 0x400, v83
	ds_read2_b64 v[48:51], v15 offset0:112 offset1:152
	s_waitcnt lgkmcnt(3)
	v_mul_f32_e32 v56, v17, v39
	v_mul_f32_e32 v17, v17, v38
	v_add_u32_e32 v14, 0x800, v83
	v_fmac_f32_e32 v56, v16, v38
	v_fma_f32 v16, v16, v39, -v17
	s_waitcnt lgkmcnt(2)
	v_mul_f32_e32 v17, v19, v41
	v_mul_f32_e32 v19, v19, v40
	ds_read2_b64 v[52:55], v14 offset0:64 offset1:104
	v_fmac_f32_e32 v17, v18, v40
	v_fma_f32 v18, v18, v41, -v19
	v_mul_f32_e32 v19, v9, v43
	v_mul_f32_e32 v9, v9, v42
	v_fmac_f32_e32 v19, v8, v42
	v_fma_f32 v8, v8, v43, -v9
	s_waitcnt lgkmcnt(2)
	v_mul_f32_e32 v9, v11, v45
	v_mul_f32_e32 v11, v11, v44
	v_fmac_f32_e32 v9, v10, v44
	v_fma_f32 v10, v10, v45, -v11
	v_mul_f32_e32 v11, v5, v47
	v_mul_f32_e32 v5, v5, v46
	v_fmac_f32_e32 v11, v4, v46
	v_fma_f32 v4, v4, v47, -v5
	s_waitcnt lgkmcnt(1)
	v_mul_f32_e32 v5, v7, v49
	v_mul_f32_e32 v7, v7, v48
	;; [unrolled: 9-line block ×3, first 2 shown]
	v_add_f32_e32 v40, v9, v5
	v_fmac_f32_e32 v1, v2, v52
	v_fma_f32 v2, v2, v53, -v3
	v_fma_f32 v40, -0.5, v40, v36
	v_sub_f32_e32 v41, v18, v2
	v_mov_b32_e32 v42, v40
	v_fmac_f32_e32 v42, 0xbf737871, v41
	v_sub_f32_e32 v43, v10, v6
	v_sub_f32_e32 v44, v17, v9
	;; [unrolled: 1-line block ×3, first 2 shown]
	v_fmac_f32_e32 v40, 0x3f737871, v41
	v_fmac_f32_e32 v42, 0xbf167918, v43
	v_add_f32_e32 v44, v44, v45
	v_fmac_f32_e32 v40, 0x3f167918, v43
	v_fmac_f32_e32 v42, 0x3e9e377a, v44
	;; [unrolled: 1-line block ×3, first 2 shown]
	v_add_f32_e32 v44, v17, v1
	v_add_f32_e32 v39, v36, v17
	v_fma_f32 v36, -0.5, v44, v36
	v_mov_b32_e32 v44, v36
	v_add_f32_e32 v39, v39, v9
	v_fmac_f32_e32 v44, 0x3f737871, v43
	v_fmac_f32_e32 v36, 0xbf737871, v43
	v_add_f32_e32 v43, v10, v6
	v_add_f32_e32 v39, v39, v5
	v_sub_f32_e32 v45, v9, v17
	v_sub_f32_e32 v46, v5, v1
	v_fma_f32 v43, -0.5, v43, v37
	v_add_f32_e32 v39, v39, v1
	v_fmac_f32_e32 v44, 0xbf167918, v41
	v_add_f32_e32 v45, v45, v46
	v_fmac_f32_e32 v36, 0x3f167918, v41
	v_sub_f32_e32 v1, v17, v1
	v_mov_b32_e32 v17, v43
	v_fmac_f32_e32 v44, 0x3e9e377a, v45
	v_fmac_f32_e32 v36, 0x3e9e377a, v45
	;; [unrolled: 1-line block ×3, first 2 shown]
	v_sub_f32_e32 v5, v9, v5
	v_sub_f32_e32 v9, v18, v10
	;; [unrolled: 1-line block ×3, first 2 shown]
	v_fmac_f32_e32 v43, 0xbf737871, v1
	v_fmac_f32_e32 v17, 0x3f167918, v5
	v_add_f32_e32 v9, v9, v45
	v_fmac_f32_e32 v43, 0xbf167918, v5
	v_fmac_f32_e32 v17, 0x3e9e377a, v9
	v_fmac_f32_e32 v43, 0x3e9e377a, v9
	v_add_f32_e32 v9, v18, v2
	v_add_f32_e32 v41, v37, v18
	v_fma_f32 v37, -0.5, v9, v37
	v_mov_b32_e32 v45, v37
	v_fmac_f32_e32 v45, 0xbf737871, v5
	v_fmac_f32_e32 v37, 0x3f737871, v5
	;; [unrolled: 1-line block ×4, first 2 shown]
	v_add_f32_e32 v1, v56, v19
	v_mul_f32_e32 v3, v80, v55
	v_add_f32_e32 v41, v41, v10
	v_add_f32_e32 v1, v1, v11
	v_fmac_f32_e32 v3, v79, v54
	v_add_f32_e32 v41, v41, v6
	v_add_f32_e32 v1, v1, v7
	v_mul_f32_e32 v38, v80, v54
	v_add_f32_e32 v41, v41, v2
	v_sub_f32_e32 v9, v10, v18
	v_sub_f32_e32 v2, v6, v2
	v_add_f32_e32 v10, v1, v3
	v_add_f32_e32 v1, v11, v7
	v_fma_f32 v38, v79, v55, -v38
	v_add_f32_e32 v2, v9, v2
	v_fma_f32 v9, -0.5, v1, v56
	v_sub_f32_e32 v1, v8, v38
	v_mov_b32_e32 v5, v9
	v_fmac_f32_e32 v45, 0x3e9e377a, v2
	v_fmac_f32_e32 v37, 0x3e9e377a, v2
	;; [unrolled: 1-line block ×3, first 2 shown]
	v_sub_f32_e32 v2, v4, v0
	v_sub_f32_e32 v6, v19, v11
	;; [unrolled: 1-line block ×3, first 2 shown]
	v_fmac_f32_e32 v9, 0x3f737871, v1
	v_fmac_f32_e32 v5, 0xbf167918, v2
	v_add_f32_e32 v6, v6, v18
	v_fmac_f32_e32 v9, 0x3f167918, v2
	v_fmac_f32_e32 v5, 0x3e9e377a, v6
	;; [unrolled: 1-line block ×3, first 2 shown]
	v_add_f32_e32 v6, v19, v3
	v_fmac_f32_e32 v56, -0.5, v6
	v_mov_b32_e32 v18, v56
	v_fmac_f32_e32 v18, 0x3f737871, v2
	v_fmac_f32_e32 v56, 0xbf737871, v2
	;; [unrolled: 1-line block ×4, first 2 shown]
	v_add_f32_e32 v1, v16, v8
	v_add_f32_e32 v1, v1, v4
	v_sub_f32_e32 v6, v11, v19
	v_sub_f32_e32 v46, v7, v3
	v_add_f32_e32 v1, v1, v0
	v_add_f32_e32 v6, v6, v46
	;; [unrolled: 1-line block ×4, first 2 shown]
	v_fma_f32 v47, -0.5, v1, v16
	v_sub_f32_e32 v1, v19, v3
	v_mov_b32_e32 v3, v47
	v_fmac_f32_e32 v18, 0x3e9e377a, v6
	v_fmac_f32_e32 v56, 0x3e9e377a, v6
	;; [unrolled: 1-line block ×3, first 2 shown]
	v_sub_f32_e32 v2, v11, v7
	v_sub_f32_e32 v6, v8, v4
	;; [unrolled: 1-line block ×3, first 2 shown]
	v_fmac_f32_e32 v47, 0xbf737871, v1
	v_fmac_f32_e32 v3, 0x3f167918, v2
	v_add_f32_e32 v6, v6, v7
	v_fmac_f32_e32 v47, 0xbf167918, v2
	v_fmac_f32_e32 v3, 0x3e9e377a, v6
	;; [unrolled: 1-line block ×3, first 2 shown]
	v_add_f32_e32 v6, v8, v38
	v_fmac_f32_e32 v16, -0.5, v6
	v_mov_b32_e32 v7, v16
	v_fmac_f32_e32 v7, 0xbf737871, v2
	v_sub_f32_e32 v4, v4, v8
	v_sub_f32_e32 v0, v0, v38
	v_fmac_f32_e32 v16, 0x3f737871, v2
	v_fmac_f32_e32 v7, 0x3f167918, v1
	v_add_f32_e32 v0, v4, v0
	v_fmac_f32_e32 v16, 0xbf167918, v1
	v_fmac_f32_e32 v7, 0x3e9e377a, v0
	;; [unrolled: 1-line block ×3, first 2 shown]
	v_mul_f32_e32 v11, 0xbf167918, v3
	v_mul_f32_e32 v19, 0xbf737871, v7
	v_mul_f32_e32 v38, 0xbf737871, v16
	v_mul_f32_e32 v48, 0xbf167918, v47
	v_mul_f32_e32 v49, 0x3f4f1bbd, v3
	v_mul_f32_e32 v50, 0x3e9e377a, v7
	v_mul_f32_e32 v51, 0xbe9e377a, v16
	v_mul_f32_e32 v47, 0xbf4f1bbd, v47
	v_fmac_f32_e32 v11, 0x3f4f1bbd, v5
	v_fmac_f32_e32 v19, 0x3e9e377a, v18
	;; [unrolled: 1-line block ×8, first 2 shown]
	v_add_f32_e32 v0, v39, v10
	v_add_f32_e32 v2, v42, v11
	;; [unrolled: 1-line block ×10, first 2 shown]
	v_sub_f32_e32 v10, v39, v10
	v_sub_f32_e32 v16, v42, v11
	;; [unrolled: 1-line block ×10, first 2 shown]
	s_barrier
	ds_write2_b64 v87, v[0:1], v[2:3] offset1:4
	ds_write2_b64 v87, v[4:5], v[6:7] offset0:8 offset1:12
	ds_write2_b64 v87, v[8:9], v[10:11] offset0:16 offset1:20
	;; [unrolled: 1-line block ×4, first 2 shown]
	s_waitcnt lgkmcnt(0)
	s_barrier
	ds_read2_b64 v[0:3], v83 offset1:40
	ds_read2_b64 v[4:7], v83 offset0:80 offset1:120
	ds_read2_b64 v[8:11], v83 offset0:160 offset1:200
	;; [unrolled: 1-line block ×4, first 2 shown]
	s_waitcnt lgkmcnt(4)
	v_mul_f32_e32 v40, v33, v3
	v_fmac_f32_e32 v40, v32, v2
	v_mul_f32_e32 v2, v33, v2
	v_fma_f32 v32, v32, v3, -v2
	s_waitcnt lgkmcnt(3)
	v_mul_f32_e32 v2, v35, v5
	v_mul_f32_e32 v3, v35, v4
	v_fmac_f32_e32 v2, v34, v4
	v_fma_f32 v3, v34, v5, -v3
	v_mul_f32_e32 v4, v29, v7
	v_mul_f32_e32 v5, v29, v6
	v_fmac_f32_e32 v4, v28, v6
	v_fma_f32 v5, v28, v7, -v5
	s_waitcnt lgkmcnt(2)
	v_mul_f32_e32 v6, v31, v9
	v_mul_f32_e32 v7, v31, v8
	v_fmac_f32_e32 v6, v30, v8
	v_fma_f32 v7, v30, v9, -v7
	v_mul_f32_e32 v8, v25, v11
	v_mul_f32_e32 v9, v25, v10
	v_fmac_f32_e32 v8, v24, v10
	v_fma_f32 v9, v24, v11, -v9
	s_waitcnt lgkmcnt(1)
	v_mul_f32_e32 v10, v27, v17
	v_mul_f32_e32 v11, v27, v16
	v_fmac_f32_e32 v10, v26, v16
	v_fma_f32 v11, v26, v17, -v11
	v_mul_f32_e32 v16, v21, v19
	v_mul_f32_e32 v17, v21, v18
	v_fmac_f32_e32 v16, v20, v18
	v_fma_f32 v17, v20, v19, -v17
	s_waitcnt lgkmcnt(0)
	v_mul_f32_e32 v18, v23, v37
	v_mul_f32_e32 v19, v23, v36
	v_add_f32_e32 v23, v6, v10
	v_fma_f32 v19, v22, v37, -v19
	v_fma_f32 v23, -0.5, v23, v0
	v_fmac_f32_e32 v18, v22, v36
	v_sub_f32_e32 v24, v3, v19
	v_mov_b32_e32 v25, v23
	v_fmac_f32_e32 v25, 0xbf737871, v24
	v_sub_f32_e32 v26, v7, v11
	v_sub_f32_e32 v27, v2, v6
	;; [unrolled: 1-line block ×3, first 2 shown]
	v_fmac_f32_e32 v23, 0x3f737871, v24
	v_fmac_f32_e32 v25, 0xbf167918, v26
	v_add_f32_e32 v27, v27, v28
	v_fmac_f32_e32 v23, 0x3f167918, v26
	v_fmac_f32_e32 v25, 0x3e9e377a, v27
	;; [unrolled: 1-line block ×3, first 2 shown]
	v_add_f32_e32 v27, v2, v18
	v_fma_f32 v27, -0.5, v27, v0
	v_mov_b32_e32 v28, v27
	v_add_f32_e32 v22, v0, v2
	v_fmac_f32_e32 v28, 0x3f737871, v26
	v_sub_f32_e32 v0, v6, v2
	v_sub_f32_e32 v29, v10, v18
	v_fmac_f32_e32 v27, 0xbf737871, v26
	v_fmac_f32_e32 v28, 0xbf167918, v24
	v_add_f32_e32 v0, v0, v29
	v_fmac_f32_e32 v27, 0x3f167918, v24
	v_fmac_f32_e32 v28, 0x3e9e377a, v0
	;; [unrolled: 1-line block ×3, first 2 shown]
	v_add_f32_e32 v0, v1, v3
	v_add_f32_e32 v0, v0, v7
	;; [unrolled: 1-line block ×5, first 2 shown]
	v_fma_f32 v26, -0.5, v0, v1
	v_add_f32_e32 v22, v22, v6
	v_sub_f32_e32 v0, v2, v18
	v_mov_b32_e32 v29, v26
	v_add_f32_e32 v22, v22, v10
	v_fmac_f32_e32 v29, 0x3f737871, v0
	v_sub_f32_e32 v2, v6, v10
	v_sub_f32_e32 v6, v3, v7
	;; [unrolled: 1-line block ×3, first 2 shown]
	v_fmac_f32_e32 v26, 0xbf737871, v0
	v_fmac_f32_e32 v29, 0x3f167918, v2
	v_add_f32_e32 v6, v6, v10
	v_fmac_f32_e32 v26, 0xbf167918, v2
	v_fmac_f32_e32 v29, 0x3e9e377a, v6
	;; [unrolled: 1-line block ×3, first 2 shown]
	v_add_f32_e32 v6, v3, v19
	v_fma_f32 v30, -0.5, v6, v1
	v_mov_b32_e32 v31, v30
	v_fmac_f32_e32 v31, 0xbf737871, v2
	v_fmac_f32_e32 v30, 0x3f737871, v2
	v_fmac_f32_e32 v31, 0x3f167918, v0
	v_fmac_f32_e32 v30, 0xbf167918, v0
	v_add_f32_e32 v0, v40, v4
	v_mul_f32_e32 v20, v82, v39
	v_add_f32_e32 v0, v0, v8
	v_fmac_f32_e32 v20, v81, v38
	v_add_f32_e32 v0, v0, v16
	v_mul_f32_e32 v21, v82, v38
	v_add_f32_e32 v10, v0, v20
	v_add_f32_e32 v0, v8, v16
	v_fma_f32 v21, v81, v39, -v21
	v_sub_f32_e32 v1, v7, v3
	v_sub_f32_e32 v3, v11, v19
	v_fma_f32 v11, -0.5, v0, v40
	v_add_f32_e32 v1, v1, v3
	v_sub_f32_e32 v0, v5, v21
	v_mov_b32_e32 v3, v11
	v_fmac_f32_e32 v31, 0x3e9e377a, v1
	v_fmac_f32_e32 v30, 0x3e9e377a, v1
	;; [unrolled: 1-line block ×3, first 2 shown]
	v_sub_f32_e32 v1, v9, v17
	v_sub_f32_e32 v2, v4, v8
	;; [unrolled: 1-line block ×3, first 2 shown]
	v_fmac_f32_e32 v11, 0x3f737871, v0
	v_fmac_f32_e32 v3, 0xbf167918, v1
	v_add_f32_e32 v2, v2, v6
	v_fmac_f32_e32 v11, 0x3f167918, v1
	v_fmac_f32_e32 v3, 0x3e9e377a, v2
	;; [unrolled: 1-line block ×3, first 2 shown]
	v_add_f32_e32 v2, v4, v20
	v_fmac_f32_e32 v40, -0.5, v2
	v_mov_b32_e32 v7, v40
	v_fmac_f32_e32 v7, 0x3f737871, v1
	v_fmac_f32_e32 v40, 0xbf737871, v1
	;; [unrolled: 1-line block ×4, first 2 shown]
	v_add_f32_e32 v0, v32, v5
	v_add_f32_e32 v0, v0, v9
	;; [unrolled: 1-line block ×6, first 2 shown]
	v_sub_f32_e32 v2, v8, v4
	v_sub_f32_e32 v6, v16, v20
	v_fma_f32 v18, -0.5, v0, v32
	v_add_f32_e32 v2, v2, v6
	v_sub_f32_e32 v0, v4, v20
	v_mov_b32_e32 v20, v18
	v_fmac_f32_e32 v7, 0x3e9e377a, v2
	v_fmac_f32_e32 v40, 0x3e9e377a, v2
	;; [unrolled: 1-line block ×3, first 2 shown]
	v_sub_f32_e32 v1, v8, v16
	v_sub_f32_e32 v2, v5, v9
	;; [unrolled: 1-line block ×3, first 2 shown]
	v_fmac_f32_e32 v18, 0xbf737871, v0
	v_fmac_f32_e32 v20, 0x3f167918, v1
	v_add_f32_e32 v2, v2, v4
	v_fmac_f32_e32 v18, 0xbf167918, v1
	v_fmac_f32_e32 v20, 0x3e9e377a, v2
	v_fmac_f32_e32 v18, 0x3e9e377a, v2
	v_add_f32_e32 v2, v5, v21
	v_fmac_f32_e32 v32, -0.5, v2
	v_mov_b32_e32 v16, v32
	v_fmac_f32_e32 v16, 0xbf737871, v1
	v_sub_f32_e32 v2, v9, v5
	v_sub_f32_e32 v4, v17, v21
	v_fmac_f32_e32 v32, 0x3f737871, v1
	v_fmac_f32_e32 v16, 0x3f167918, v0
	v_add_f32_e32 v2, v2, v4
	v_fmac_f32_e32 v32, 0xbf167918, v0
	v_fmac_f32_e32 v16, 0x3e9e377a, v2
	;; [unrolled: 1-line block ×3, first 2 shown]
	v_mul_f32_e32 v17, 0xbf167918, v20
	v_mul_f32_e32 v35, 0x3f4f1bbd, v20
	v_fmac_f32_e32 v17, 0x3f4f1bbd, v3
	v_mul_f32_e32 v21, 0xbf737871, v16
	v_mul_f32_e32 v33, 0xbf737871, v32
	;; [unrolled: 1-line block ×3, first 2 shown]
	v_fmac_f32_e32 v35, 0x3f167918, v3
	v_mul_f32_e32 v36, 0x3e9e377a, v16
	v_mul_f32_e32 v32, 0xbe9e377a, v32
	;; [unrolled: 1-line block ×3, first 2 shown]
	v_mad_u64_u32 v[12:13], s[2:3], s10, v70, 0
	v_add_f32_e32 v0, v22, v10
	v_add_f32_e32 v2, v25, v17
	v_fmac_f32_e32 v21, 0x3e9e377a, v7
	v_fmac_f32_e32 v33, 0xbe9e377a, v40
	v_fmac_f32_e32 v34, 0xbf4f1bbd, v11
	v_add_f32_e32 v1, v24, v19
	v_add_f32_e32 v3, v29, v35
	v_fmac_f32_e32 v36, 0x3f737871, v7
	v_fmac_f32_e32 v32, 0x3f737871, v40
	;; [unrolled: 1-line block ×3, first 2 shown]
	v_add_f32_e32 v4, v28, v21
	v_add_f32_e32 v6, v27, v33
	;; [unrolled: 1-line block ×6, first 2 shown]
	v_sub_f32_e32 v10, v22, v10
	v_sub_f32_e32 v16, v25, v17
	v_sub_f32_e32 v18, v28, v21
	v_sub_f32_e32 v20, v27, v33
	v_sub_f32_e32 v22, v23, v34
	v_sub_f32_e32 v11, v24, v19
	v_sub_f32_e32 v17, v29, v35
	v_sub_f32_e32 v19, v31, v36
	v_sub_f32_e32 v21, v30, v32
	v_sub_f32_e32 v23, v26, v37
	ds_write2_b64 v83, v[0:1], v[2:3] offset1:40
	ds_write2_b64 v83, v[4:5], v[6:7] offset0:80 offset1:120
	ds_write2_b64 v83, v[8:9], v[10:11] offset0:160 offset1:200
	;; [unrolled: 1-line block ×4, first 2 shown]
	s_waitcnt lgkmcnt(0)
	s_barrier
	ds_read2_b64 v[0:3], v83 offset1:40
	v_mov_b32_e32 v4, v13
	v_mad_u64_u32 v[4:5], s[2:3], s11, v70, v[4:5]
	s_mov_b32 s2, 0x47ae147b
	s_waitcnt lgkmcnt(0)
	v_mul_f32_e32 v5, v78, v1
	v_fmac_f32_e32 v5, v77, v0
	v_cvt_f64_f32_e32 v[5:6], v5
	s_mov_b32 s3, 0x3f647ae1
	v_mul_f32_e32 v0, v78, v0
	v_fma_f32 v0, v77, v1, -v0
	v_mul_f64 v[5:6], v[5:6], s[2:3]
	v_cvt_f64_f32_e32 v[0:1], v0
	v_mad_u64_u32 v[8:9], s[4:5], s8, v84, 0
	v_mov_b32_e32 v13, v4
	v_mul_f64 v[0:1], v[0:1], s[2:3]
	v_mov_b32_e32 v4, v9
	v_mov_b32_e32 v15, s7
	v_mad_u64_u32 v[9:10], s[4:5], s9, v84, v[4:5]
	v_cvt_f32_f64_e32 v10, v[5:6]
	ds_read2_b64 v[4:7], v83 offset0:100 offset1:140
	v_lshlrev_b64 v[8:9], 3, v[8:9]
	v_cvt_f32_f64_e32 v11, v[0:1]
	v_lshlrev_b64 v[0:1], 3, v[12:13]
	s_mul_i32 s4, s9, 0x64
	s_waitcnt lgkmcnt(0)
	v_mul_f32_e32 v12, v76, v5
	v_fmac_f32_e32 v12, v75, v4
	v_mul_f32_e32 v4, v76, v4
	v_fma_f32 v4, v75, v5, -v4
	v_cvt_f64_f32_e32 v[12:13], v12
	v_cvt_f64_f32_e32 v[4:5], v4
	v_add_co_u32_e32 v16, vcc, s6, v0
	v_addc_co_u32_e32 v15, vcc, v15, v1, vcc
	v_mul_f64 v[0:1], v[12:13], s[2:3]
	v_mul_f64 v[4:5], v[4:5], s[2:3]
	v_add_co_u32_e32 v12, vcc, v16, v8
	v_addc_co_u32_e32 v13, vcc, v15, v9, vcc
	global_store_dwordx2 v[12:13], v[10:11], off
	ds_read2_b64 v[8:11], v83 offset0:200 offset1:240
	v_cvt_f32_f64_e32 v0, v[0:1]
	v_cvt_f32_f64_e32 v1, v[4:5]
	s_mul_hi_u32 s5, s8, 0x64
	ds_read2_b64 v[15:18], v14 offset0:44 offset1:84
	s_waitcnt lgkmcnt(1)
	v_mul_f32_e32 v4, v72, v9
	v_fmac_f32_e32 v4, v71, v8
	v_mul_f32_e32 v8, v72, v8
	v_fma_f32 v8, v71, v9, -v8
	v_cvt_f64_f32_e32 v[4:5], v4
	v_cvt_f64_f32_e32 v[8:9], v8
	s_add_i32 s5, s5, s4
	s_mul_i32 s4, s8, 0x64
	v_mul_f64 v[4:5], v[4:5], s[2:3]
	v_mul_f64 v[8:9], v[8:9], s[2:3]
	s_lshl_b64 s[4:5], s[4:5], 3
	v_mov_b32_e32 v19, s5
	v_add_co_u32_e32 v12, vcc, s4, v12
	v_addc_co_u32_e32 v13, vcc, v13, v19, vcc
	global_store_dwordx2 v[12:13], v[0:1], off
	v_cvt_f32_f64_e32 v0, v[4:5]
	v_cvt_f32_f64_e32 v1, v[8:9]
	s_waitcnt lgkmcnt(0)
	v_mul_f32_e32 v4, v69, v16
	v_mul_f32_e32 v8, v69, v15
	v_fmac_f32_e32 v4, v68, v15
	v_fma_f32 v8, v68, v16, -v8
	v_cvt_f64_f32_e32 v[4:5], v4
	v_cvt_f64_f32_e32 v[8:9], v8
	v_mul_f32_e32 v15, v74, v3
	v_fmac_f32_e32 v15, v73, v2
	v_mul_f32_e32 v2, v74, v2
	v_fma_f32 v2, v73, v3, -v2
	v_mul_f64 v[4:5], v[4:5], s[2:3]
	v_mul_f64 v[8:9], v[8:9], s[2:3]
	v_cvt_f64_f32_e32 v[2:3], v2
	v_add_co_u32_e32 v12, vcc, s4, v12
	v_cvt_f64_f32_e32 v[15:16], v15
	v_mul_f64 v[2:3], v[2:3], s[2:3]
	v_addc_co_u32_e32 v13, vcc, v13, v19, vcc
	global_store_dwordx2 v[12:13], v[0:1], off
	v_cvt_f32_f64_e32 v0, v[4:5]
	v_cvt_f32_f64_e32 v1, v[8:9]
	v_mul_f64 v[4:5], v[15:16], s[2:3]
	v_add_co_u32_e32 v8, vcc, s4, v12
	v_addc_co_u32_e32 v9, vcc, v13, v19, vcc
	global_store_dwordx2 v[8:9], v[0:1], off
	v_cvt_f32_f64_e32 v1, v[2:3]
	v_mul_f32_e32 v2, v65, v7
	v_fmac_f32_e32 v2, v64, v6
	v_cvt_f64_f32_e32 v[2:3], v2
	v_cvt_f32_f64_e32 v0, v[4:5]
	v_mul_f32_e32 v4, v65, v6
	v_fma_f32 v4, v64, v7, -v4
	v_mul_f64 v[2:3], v[2:3], s[2:3]
	s_mul_hi_u32 s7, s8, 0xfffffefc
	v_cvt_f64_f32_e32 v[4:5], v4
	s_mul_i32 s6, s9, 0xfffffefc
	s_sub_i32 s7, s7, s8
	s_add_i32 s7, s7, s6
	s_mul_i32 s6, s8, 0xfffffefc
	s_lshl_b64 s[6:7], s[6:7], 3
	v_mul_f64 v[4:5], v[4:5], s[2:3]
	v_mov_b32_e32 v7, s7
	v_add_co_u32_e32 v6, vcc, s6, v8
	v_addc_co_u32_e32 v7, vcc, v9, v7, vcc
	global_store_dwordx2 v[6:7], v[0:1], off
	v_cvt_f32_f64_e32 v0, v[2:3]
	v_mul_f32_e32 v2, v67, v11
	v_fmac_f32_e32 v2, v66, v10
	v_cvt_f64_f32_e32 v[2:3], v2
	v_cvt_f32_f64_e32 v1, v[4:5]
	v_mul_f32_e32 v4, v67, v10
	v_fma_f32 v4, v66, v11, -v4
	v_mul_f64 v[2:3], v[2:3], s[2:3]
	v_cvt_f64_f32_e32 v[4:5], v4
	v_mul_f32_e32 v8, v63, v18
	v_mul_f32_e32 v10, v63, v17
	v_fmac_f32_e32 v8, v62, v17
	v_fma_f32 v10, v62, v18, -v10
	v_cvt_f64_f32_e32 v[8:9], v8
	v_cvt_f64_f32_e32 v[10:11], v10
	v_add_co_u32_e32 v6, vcc, s4, v6
	v_mul_f64 v[4:5], v[4:5], s[2:3]
	v_addc_co_u32_e32 v7, vcc, v7, v19, vcc
	global_store_dwordx2 v[6:7], v[0:1], off
	v_cvt_f32_f64_e32 v0, v[2:3]
	v_mul_f64 v[2:3], v[8:9], s[2:3]
	v_mul_f64 v[8:9], v[10:11], s[2:3]
	v_cvt_f32_f64_e32 v1, v[4:5]
	v_add_co_u32_e32 v4, vcc, s4, v6
	v_addc_co_u32_e32 v5, vcc, v7, v19, vcc
	v_cvt_f32_f64_e32 v2, v[2:3]
	v_cvt_f32_f64_e32 v3, v[8:9]
	global_store_dwordx2 v[4:5], v[0:1], off
	v_add_co_u32_e32 v0, vcc, s4, v4
	v_addc_co_u32_e32 v1, vcc, v5, v19, vcc
	global_store_dwordx2 v[0:1], v[2:3], off
	s_and_b64 exec, exec, s[0:1]
	s_cbranch_execz .LBB0_15
; %bb.14:
	global_load_dwordx2 v[10:11], v[60:61], off offset:640
	global_load_dwordx2 v[12:13], v[60:61], off offset:1440
	;; [unrolled: 1-line block ×4, first 2 shown]
	ds_read2_b64 v[2:5], v83 offset0:80 offset1:180
	ds_read2_b64 v[6:9], v14 offset0:24 offset1:124
	v_mov_b32_e32 v19, s7
	v_add_co_u32_e32 v0, vcc, s6, v0
	v_addc_co_u32_e32 v1, vcc, v1, v19, vcc
	v_mov_b32_e32 v24, s5
	v_add_co_u32_e32 v19, vcc, s4, v0
	v_addc_co_u32_e32 v20, vcc, v1, v24, vcc
	v_add_co_u32_e32 v21, vcc, s4, v19
	v_addc_co_u32_e32 v22, vcc, v20, v24, vcc
	;; [unrolled: 2-line block ×3, first 2 shown]
	s_waitcnt vmcnt(3) lgkmcnt(1)
	v_mul_f32_e32 v14, v3, v11
	v_mul_f32_e32 v11, v2, v11
	s_waitcnt vmcnt(2)
	v_mul_f32_e32 v25, v5, v13
	v_mul_f32_e32 v13, v4, v13
	v_fmac_f32_e32 v14, v2, v10
	v_fma_f32 v10, v10, v3, -v11
	s_waitcnt vmcnt(1) lgkmcnt(0)
	v_mul_f32_e32 v26, v7, v16
	v_mul_f32_e32 v16, v6, v16
	s_waitcnt vmcnt(0)
	v_mul_f32_e32 v27, v9, v18
	v_mul_f32_e32 v18, v8, v18
	v_fmac_f32_e32 v25, v4, v12
	v_fma_f32 v11, v12, v5, -v13
	v_cvt_f64_f32_e32 v[2:3], v14
	v_cvt_f64_f32_e32 v[4:5], v10
	v_fmac_f32_e32 v26, v6, v15
	v_fma_f32 v12, v15, v7, -v16
	v_fmac_f32_e32 v27, v8, v17
	v_fma_f32 v16, v17, v9, -v18
	v_cvt_f64_f32_e32 v[6:7], v25
	v_cvt_f64_f32_e32 v[8:9], v11
	;; [unrolled: 1-line block ×6, first 2 shown]
	v_mul_f64 v[2:3], v[2:3], s[2:3]
	v_mul_f64 v[4:5], v[4:5], s[2:3]
	;; [unrolled: 1-line block ×8, first 2 shown]
	v_cvt_f32_f64_e32 v2, v[2:3]
	v_cvt_f32_f64_e32 v3, v[4:5]
	;; [unrolled: 1-line block ×8, first 2 shown]
	global_store_dwordx2 v[0:1], v[2:3], off
	global_store_dwordx2 v[19:20], v[4:5], off
	;; [unrolled: 1-line block ×4, first 2 shown]
.LBB0_15:
	s_endpgm
	.section	.rodata,"a",@progbits
	.p2align	6, 0x0
	.amdhsa_kernel bluestein_single_back_len400_dim1_sp_op_CI_CI
		.amdhsa_group_segment_fixed_size 9600
		.amdhsa_private_segment_fixed_size 0
		.amdhsa_kernarg_size 104
		.amdhsa_user_sgpr_count 6
		.amdhsa_user_sgpr_private_segment_buffer 1
		.amdhsa_user_sgpr_dispatch_ptr 0
		.amdhsa_user_sgpr_queue_ptr 0
		.amdhsa_user_sgpr_kernarg_segment_ptr 1
		.amdhsa_user_sgpr_dispatch_id 0
		.amdhsa_user_sgpr_flat_scratch_init 0
		.amdhsa_user_sgpr_private_segment_size 0
		.amdhsa_uses_dynamic_stack 0
		.amdhsa_system_sgpr_private_segment_wavefront_offset 0
		.amdhsa_system_sgpr_workgroup_id_x 1
		.amdhsa_system_sgpr_workgroup_id_y 0
		.amdhsa_system_sgpr_workgroup_id_z 0
		.amdhsa_system_sgpr_workgroup_info 0
		.amdhsa_system_vgpr_workitem_id 0
		.amdhsa_next_free_vgpr 103
		.amdhsa_next_free_sgpr 18
		.amdhsa_reserve_vcc 1
		.amdhsa_reserve_flat_scratch 0
		.amdhsa_float_round_mode_32 0
		.amdhsa_float_round_mode_16_64 0
		.amdhsa_float_denorm_mode_32 3
		.amdhsa_float_denorm_mode_16_64 3
		.amdhsa_dx10_clamp 1
		.amdhsa_ieee_mode 1
		.amdhsa_fp16_overflow 0
		.amdhsa_exception_fp_ieee_invalid_op 0
		.amdhsa_exception_fp_denorm_src 0
		.amdhsa_exception_fp_ieee_div_zero 0
		.amdhsa_exception_fp_ieee_overflow 0
		.amdhsa_exception_fp_ieee_underflow 0
		.amdhsa_exception_fp_ieee_inexact 0
		.amdhsa_exception_int_div_zero 0
	.end_amdhsa_kernel
	.text
.Lfunc_end0:
	.size	bluestein_single_back_len400_dim1_sp_op_CI_CI, .Lfunc_end0-bluestein_single_back_len400_dim1_sp_op_CI_CI
                                        ; -- End function
	.section	.AMDGPU.csdata,"",@progbits
; Kernel info:
; codeLenInByte = 8564
; NumSgprs: 22
; NumVgprs: 103
; ScratchSize: 0
; MemoryBound: 0
; FloatMode: 240
; IeeeMode: 1
; LDSByteSize: 9600 bytes/workgroup (compile time only)
; SGPRBlocks: 2
; VGPRBlocks: 25
; NumSGPRsForWavesPerEU: 22
; NumVGPRsForWavesPerEU: 103
; Occupancy: 2
; WaveLimiterHint : 1
; COMPUTE_PGM_RSRC2:SCRATCH_EN: 0
; COMPUTE_PGM_RSRC2:USER_SGPR: 6
; COMPUTE_PGM_RSRC2:TRAP_HANDLER: 0
; COMPUTE_PGM_RSRC2:TGID_X_EN: 1
; COMPUTE_PGM_RSRC2:TGID_Y_EN: 0
; COMPUTE_PGM_RSRC2:TGID_Z_EN: 0
; COMPUTE_PGM_RSRC2:TIDIG_COMP_CNT: 0
	.type	__hip_cuid_e37ab01eb12b1d5c,@object ; @__hip_cuid_e37ab01eb12b1d5c
	.section	.bss,"aw",@nobits
	.globl	__hip_cuid_e37ab01eb12b1d5c
__hip_cuid_e37ab01eb12b1d5c:
	.byte	0                               ; 0x0
	.size	__hip_cuid_e37ab01eb12b1d5c, 1

	.ident	"AMD clang version 19.0.0git (https://github.com/RadeonOpenCompute/llvm-project roc-6.4.0 25133 c7fe45cf4b819c5991fe208aaa96edf142730f1d)"
	.section	".note.GNU-stack","",@progbits
	.addrsig
	.addrsig_sym __hip_cuid_e37ab01eb12b1d5c
	.amdgpu_metadata
---
amdhsa.kernels:
  - .args:
      - .actual_access:  read_only
        .address_space:  global
        .offset:         0
        .size:           8
        .value_kind:     global_buffer
      - .actual_access:  read_only
        .address_space:  global
        .offset:         8
        .size:           8
        .value_kind:     global_buffer
      - .actual_access:  read_only
        .address_space:  global
        .offset:         16
        .size:           8
        .value_kind:     global_buffer
      - .actual_access:  read_only
        .address_space:  global
        .offset:         24
        .size:           8
        .value_kind:     global_buffer
      - .actual_access:  read_only
        .address_space:  global
        .offset:         32
        .size:           8
        .value_kind:     global_buffer
      - .offset:         40
        .size:           8
        .value_kind:     by_value
      - .address_space:  global
        .offset:         48
        .size:           8
        .value_kind:     global_buffer
      - .address_space:  global
        .offset:         56
        .size:           8
        .value_kind:     global_buffer
      - .address_space:  global
        .offset:         64
        .size:           8
        .value_kind:     global_buffer
      - .address_space:  global
        .offset:         72
        .size:           8
        .value_kind:     global_buffer
      - .offset:         80
        .size:           4
        .value_kind:     by_value
      - .address_space:  global
        .offset:         88
        .size:           8
        .value_kind:     global_buffer
      - .address_space:  global
        .offset:         96
        .size:           8
        .value_kind:     global_buffer
    .group_segment_fixed_size: 9600
    .kernarg_segment_align: 8
    .kernarg_segment_size: 104
    .language:       OpenCL C
    .language_version:
      - 2
      - 0
    .max_flat_workgroup_size: 120
    .name:           bluestein_single_back_len400_dim1_sp_op_CI_CI
    .private_segment_fixed_size: 0
    .sgpr_count:     22
    .sgpr_spill_count: 0
    .symbol:         bluestein_single_back_len400_dim1_sp_op_CI_CI.kd
    .uniform_work_group_size: 1
    .uses_dynamic_stack: false
    .vgpr_count:     103
    .vgpr_spill_count: 0
    .wavefront_size: 64
amdhsa.target:   amdgcn-amd-amdhsa--gfx906
amdhsa.version:
  - 1
  - 2
...

	.end_amdgpu_metadata
